;; amdgpu-corpus repo=ROCm/rocFFT kind=compiled arch=gfx1030 opt=O3
	.text
	.amdgcn_target "amdgcn-amd-amdhsa--gfx1030"
	.amdhsa_code_object_version 6
	.protected	fft_rtc_fwd_len288_factors_6_6_4_2_wgs_120_tpt_24_halfLds_dp_ip_CI_unitstride_sbrr_C2R_dirReg ; -- Begin function fft_rtc_fwd_len288_factors_6_6_4_2_wgs_120_tpt_24_halfLds_dp_ip_CI_unitstride_sbrr_C2R_dirReg
	.globl	fft_rtc_fwd_len288_factors_6_6_4_2_wgs_120_tpt_24_halfLds_dp_ip_CI_unitstride_sbrr_C2R_dirReg
	.p2align	8
	.type	fft_rtc_fwd_len288_factors_6_6_4_2_wgs_120_tpt_24_halfLds_dp_ip_CI_unitstride_sbrr_C2R_dirReg,@function
fft_rtc_fwd_len288_factors_6_6_4_2_wgs_120_tpt_24_halfLds_dp_ip_CI_unitstride_sbrr_C2R_dirReg: ; @fft_rtc_fwd_len288_factors_6_6_4_2_wgs_120_tpt_24_halfLds_dp_ip_CI_unitstride_sbrr_C2R_dirReg
; %bb.0:
	s_load_dwordx4 s[8:11], s[4:5], 0x0
	v_mul_u32_u24_e32 v1, 0xaab, v0
	s_clause 0x1
	s_load_dwordx2 s[2:3], s[4:5], 0x50
	s_load_dwordx2 s[12:13], s[4:5], 0x18
	v_mov_b32_e32 v5, 0
	v_mov_b32_e32 v3, 0
	;; [unrolled: 1-line block ×3, first 2 shown]
	v_lshrrev_b32_e32 v1, 16, v1
	v_mad_u64_u32 v[1:2], null, s6, 5, v[1:2]
	v_mov_b32_e32 v2, v5
	v_mov_b32_e32 v11, v2
	;; [unrolled: 1-line block ×3, first 2 shown]
	s_waitcnt lgkmcnt(0)
	v_cmp_lt_u64_e64 s0, s[10:11], 2
	s_and_b32 vcc_lo, exec_lo, s0
	s_cbranch_vccnz .LBB0_8
; %bb.1:
	s_load_dwordx2 s[0:1], s[4:5], 0x10
	v_mov_b32_e32 v3, 0
	v_mov_b32_e32 v8, v2
	s_add_u32 s6, s12, 8
	v_mov_b32_e32 v4, 0
	v_mov_b32_e32 v7, v1
	s_addc_u32 s7, s13, 0
	s_mov_b64 s[16:17], 1
	s_waitcnt lgkmcnt(0)
	s_add_u32 s14, s0, 8
	s_addc_u32 s15, s1, 0
.LBB0_2:                                ; =>This Inner Loop Header: Depth=1
	s_load_dwordx2 s[18:19], s[14:15], 0x0
                                        ; implicit-def: $vgpr10_vgpr11
	s_mov_b32 s0, exec_lo
	s_waitcnt lgkmcnt(0)
	v_or_b32_e32 v6, s19, v8
	v_cmpx_ne_u64_e32 0, v[5:6]
	s_xor_b32 s1, exec_lo, s0
	s_cbranch_execz .LBB0_4
; %bb.3:                                ;   in Loop: Header=BB0_2 Depth=1
	v_cvt_f32_u32_e32 v2, s18
	v_cvt_f32_u32_e32 v6, s19
	s_sub_u32 s0, 0, s18
	s_subb_u32 s20, 0, s19
	v_fmac_f32_e32 v2, 0x4f800000, v6
	v_rcp_f32_e32 v2, v2
	v_mul_f32_e32 v2, 0x5f7ffffc, v2
	v_mul_f32_e32 v6, 0x2f800000, v2
	v_trunc_f32_e32 v6, v6
	v_fmac_f32_e32 v2, 0xcf800000, v6
	v_cvt_u32_f32_e32 v6, v6
	v_cvt_u32_f32_e32 v2, v2
	v_mul_lo_u32 v9, s0, v6
	v_mul_hi_u32 v10, s0, v2
	v_mul_lo_u32 v11, s20, v2
	v_add_nc_u32_e32 v9, v10, v9
	v_mul_lo_u32 v10, s0, v2
	v_add_nc_u32_e32 v9, v9, v11
	v_mul_hi_u32 v11, v2, v10
	v_mul_lo_u32 v12, v2, v9
	v_mul_hi_u32 v13, v2, v9
	v_mul_hi_u32 v14, v6, v10
	v_mul_lo_u32 v10, v6, v10
	v_mul_hi_u32 v15, v6, v9
	v_mul_lo_u32 v9, v6, v9
	v_add_co_u32 v11, vcc_lo, v11, v12
	v_add_co_ci_u32_e32 v12, vcc_lo, 0, v13, vcc_lo
	v_add_co_u32 v10, vcc_lo, v11, v10
	v_add_co_ci_u32_e32 v10, vcc_lo, v12, v14, vcc_lo
	v_add_co_ci_u32_e32 v11, vcc_lo, 0, v15, vcc_lo
	v_add_co_u32 v9, vcc_lo, v10, v9
	v_add_co_ci_u32_e32 v10, vcc_lo, 0, v11, vcc_lo
	v_add_co_u32 v2, vcc_lo, v2, v9
	v_add_co_ci_u32_e32 v6, vcc_lo, v6, v10, vcc_lo
	v_mul_hi_u32 v9, s0, v2
	v_mul_lo_u32 v11, s20, v2
	v_mul_lo_u32 v10, s0, v6
	v_add_nc_u32_e32 v9, v9, v10
	v_mul_lo_u32 v10, s0, v2
	v_add_nc_u32_e32 v9, v9, v11
	v_mul_hi_u32 v11, v2, v10
	v_mul_lo_u32 v12, v2, v9
	v_mul_hi_u32 v13, v2, v9
	v_mul_hi_u32 v14, v6, v10
	v_mul_lo_u32 v10, v6, v10
	v_mul_hi_u32 v15, v6, v9
	v_mul_lo_u32 v9, v6, v9
	v_add_co_u32 v11, vcc_lo, v11, v12
	v_add_co_ci_u32_e32 v12, vcc_lo, 0, v13, vcc_lo
	v_add_co_u32 v10, vcc_lo, v11, v10
	v_add_co_ci_u32_e32 v10, vcc_lo, v12, v14, vcc_lo
	v_add_co_ci_u32_e32 v11, vcc_lo, 0, v15, vcc_lo
	v_add_co_u32 v9, vcc_lo, v10, v9
	v_add_co_ci_u32_e32 v10, vcc_lo, 0, v11, vcc_lo
	v_add_co_u32 v2, vcc_lo, v2, v9
	v_add_co_ci_u32_e32 v6, vcc_lo, v6, v10, vcc_lo
	v_mul_hi_u32 v15, v7, v2
	v_mad_u64_u32 v[11:12], null, v8, v2, 0
	v_mad_u64_u32 v[9:10], null, v7, v6, 0
	v_mad_u64_u32 v[13:14], null, v8, v6, 0
	v_add_co_u32 v2, vcc_lo, v15, v9
	v_add_co_ci_u32_e32 v6, vcc_lo, 0, v10, vcc_lo
	v_add_co_u32 v2, vcc_lo, v2, v11
	v_add_co_ci_u32_e32 v2, vcc_lo, v6, v12, vcc_lo
	v_add_co_ci_u32_e32 v6, vcc_lo, 0, v14, vcc_lo
	v_add_co_u32 v2, vcc_lo, v2, v13
	v_add_co_ci_u32_e32 v6, vcc_lo, 0, v6, vcc_lo
	v_mul_lo_u32 v11, s19, v2
	v_mad_u64_u32 v[9:10], null, s18, v2, 0
	v_mul_lo_u32 v12, s18, v6
	v_sub_co_u32 v9, vcc_lo, v7, v9
	v_add3_u32 v10, v10, v12, v11
	v_sub_nc_u32_e32 v11, v8, v10
	v_subrev_co_ci_u32_e64 v11, s0, s19, v11, vcc_lo
	v_add_co_u32 v12, s0, v2, 2
	v_add_co_ci_u32_e64 v13, s0, 0, v6, s0
	v_sub_co_u32 v14, s0, v9, s18
	v_sub_co_ci_u32_e32 v10, vcc_lo, v8, v10, vcc_lo
	v_subrev_co_ci_u32_e64 v11, s0, 0, v11, s0
	v_cmp_le_u32_e32 vcc_lo, s18, v14
	v_cmp_eq_u32_e64 s0, s19, v10
	v_cndmask_b32_e64 v14, 0, -1, vcc_lo
	v_cmp_le_u32_e32 vcc_lo, s19, v11
	v_cndmask_b32_e64 v15, 0, -1, vcc_lo
	v_cmp_le_u32_e32 vcc_lo, s18, v9
	;; [unrolled: 2-line block ×3, first 2 shown]
	v_cndmask_b32_e64 v16, 0, -1, vcc_lo
	v_cmp_eq_u32_e32 vcc_lo, s19, v11
	v_cndmask_b32_e64 v9, v16, v9, s0
	v_cndmask_b32_e32 v11, v15, v14, vcc_lo
	v_add_co_u32 v14, vcc_lo, v2, 1
	v_add_co_ci_u32_e32 v15, vcc_lo, 0, v6, vcc_lo
	v_cmp_ne_u32_e32 vcc_lo, 0, v11
	v_cndmask_b32_e32 v10, v15, v13, vcc_lo
	v_cndmask_b32_e32 v12, v14, v12, vcc_lo
	v_cmp_ne_u32_e32 vcc_lo, 0, v9
	v_cndmask_b32_e32 v11, v6, v10, vcc_lo
	v_cndmask_b32_e32 v10, v2, v12, vcc_lo
.LBB0_4:                                ;   in Loop: Header=BB0_2 Depth=1
	s_andn2_saveexec_b32 s0, s1
	s_cbranch_execz .LBB0_6
; %bb.5:                                ;   in Loop: Header=BB0_2 Depth=1
	v_cvt_f32_u32_e32 v2, s18
	s_sub_i32 s1, 0, s18
	v_mov_b32_e32 v11, v5
	v_rcp_iflag_f32_e32 v2, v2
	v_mul_f32_e32 v2, 0x4f7ffffe, v2
	v_cvt_u32_f32_e32 v2, v2
	v_mul_lo_u32 v6, s1, v2
	v_mul_hi_u32 v6, v2, v6
	v_add_nc_u32_e32 v2, v2, v6
	v_mul_hi_u32 v2, v7, v2
	v_mul_lo_u32 v6, v2, s18
	v_add_nc_u32_e32 v9, 1, v2
	v_sub_nc_u32_e32 v6, v7, v6
	v_subrev_nc_u32_e32 v10, s18, v6
	v_cmp_le_u32_e32 vcc_lo, s18, v6
	v_cndmask_b32_e32 v6, v6, v10, vcc_lo
	v_cndmask_b32_e32 v2, v2, v9, vcc_lo
	v_cmp_le_u32_e32 vcc_lo, s18, v6
	v_add_nc_u32_e32 v9, 1, v2
	v_cndmask_b32_e32 v10, v2, v9, vcc_lo
.LBB0_6:                                ;   in Loop: Header=BB0_2 Depth=1
	s_or_b32 exec_lo, exec_lo, s0
	s_load_dwordx2 s[0:1], s[6:7], 0x0
	v_mul_lo_u32 v2, v11, s18
	v_mul_lo_u32 v6, v10, s19
	v_mad_u64_u32 v[12:13], null, v10, s18, 0
	s_add_u32 s16, s16, 1
	s_addc_u32 s17, s17, 0
	s_add_u32 s6, s6, 8
	s_addc_u32 s7, s7, 0
	;; [unrolled: 2-line block ×3, first 2 shown]
	v_add3_u32 v2, v13, v6, v2
	v_sub_co_u32 v6, vcc_lo, v7, v12
	v_sub_co_ci_u32_e32 v2, vcc_lo, v8, v2, vcc_lo
	s_waitcnt lgkmcnt(0)
	v_mul_lo_u32 v7, s1, v6
	v_mul_lo_u32 v2, s0, v2
	v_mad_u64_u32 v[3:4], null, s0, v6, v[3:4]
	v_cmp_ge_u64_e64 s0, s[16:17], s[10:11]
	s_and_b32 vcc_lo, exec_lo, s0
	v_add3_u32 v4, v7, v4, v2
	s_cbranch_vccnz .LBB0_8
; %bb.7:                                ;   in Loop: Header=BB0_2 Depth=1
	v_mov_b32_e32 v7, v10
	v_mov_b32_e32 v8, v11
	s_branch .LBB0_2
.LBB0_8:
	s_lshl_b64 s[0:1], s[10:11], 3
	v_mul_hi_u32 v2, 0xcccccccd, v1
	s_add_u32 s0, s12, s0
	s_addc_u32 s1, s13, s1
	s_load_dwordx2 s[4:5], s[4:5], 0x20
	s_load_dwordx2 s[0:1], s[0:1], 0x0
	v_mul_hi_u32 v5, 0xaaaaaab, v0
	v_mov_b32_e32 v9, 0
	v_lshrrev_b32_e32 v2, 2, v2
	v_mul_u32_u24_e32 v5, 24, v5
	v_lshl_add_u32 v2, v2, 2, v2
	v_sub_nc_u32_e32 v8, v0, v5
	v_sub_nc_u32_e32 v1, v1, v2
	s_waitcnt lgkmcnt(0)
	v_cmp_gt_u64_e32 vcc_lo, s[4:5], v[10:11]
	v_mul_lo_u32 v6, s0, v11
	v_mul_lo_u32 v7, s1, v10
	v_mad_u64_u32 v[3:4], null, s0, v10, v[3:4]
	v_mul_u32_u24_e32 v2, 0x121, v1
	v_lshlrev_b32_e32 v16, 4, v2
	v_add3_u32 v4, v7, v4, v6
	v_lshlrev_b64 v[6:7], 4, v[3:4]
	v_mov_b32_e32 v4, v8
	s_and_saveexec_b32 s1, vcc_lo
	s_cbranch_execz .LBB0_12
; %bb.9:
	v_lshlrev_b64 v[0:1], 4, v[8:9]
	v_add_co_u32 v3, s0, s2, v6
	v_add_co_ci_u32_e64 v4, s0, s3, v7, s0
	v_or_b32_e32 v14, 0xc0, v8
	v_mov_b32_e32 v15, v9
	v_add_co_u32 v0, s0, v3, v0
	v_add_co_ci_u32_e64 v1, s0, v4, v1, s0
	v_lshlrev_b64 v[14:15], 4, v[14:15]
	v_add_co_u32 v53, s0, 0x800, v0
	v_add_co_ci_u32_e64 v54, s0, 0, v1, s0
	s_clause 0x1
	global_load_dwordx4 v[10:13], v[0:1], off
	global_load_dwordx4 v[17:20], v[0:1], off offset:384
	v_add_co_u32 v14, s0, v3, v14
	v_add_co_ci_u32_e64 v15, s0, v4, v15, s0
	s_clause 0x3
	global_load_dwordx4 v[21:24], v[0:1], off offset:768
	global_load_dwordx4 v[25:28], v[0:1], off offset:1152
	;; [unrolled: 1-line block ×4, first 2 shown]
	v_add_co_u32 v0, s0, 0x1000, v0
	v_add_co_ci_u32_e64 v1, s0, 0, v1, s0
	s_clause 0x5
	global_load_dwordx4 v[37:40], v[53:54], off offset:256
	global_load_dwordx4 v[41:44], v[53:54], off offset:640
	global_load_dwordx4 v[45:48], v[14:15], off
	global_load_dwordx4 v[49:52], v[53:54], off offset:1408
	global_load_dwordx4 v[53:56], v[53:54], off offset:1792
	;; [unrolled: 1-line block ×3, first 2 shown]
	v_lshlrev_b32_e32 v0, 4, v8
	s_mov_b32 s4, exec_lo
	v_add3_u32 v5, 0, v16, v0
	v_mov_b32_e32 v0, v8
	v_mov_b32_e32 v1, v9
	s_waitcnt vmcnt(11)
	ds_write_b128 v5, v[10:13]
	s_waitcnt vmcnt(10)
	ds_write_b128 v5, v[17:20] offset:384
	s_waitcnt vmcnt(9)
	ds_write_b128 v5, v[21:24] offset:768
	;; [unrolled: 2-line block ×11, first 2 shown]
	v_cmpx_eq_u32_e32 23, v8
	s_cbranch_execz .LBB0_11
; %bb.10:
	v_add_co_u32 v0, s0, 0x1000, v3
	v_add_co_ci_u32_e64 v1, s0, 0, v4, s0
	v_mov_b32_e32 v8, 23
	global_load_dwordx4 v[9:12], v[0:1], off offset:512
	v_mov_b32_e32 v0, 23
	v_mov_b32_e32 v1, 0
	s_waitcnt vmcnt(0)
	ds_write_b128 v5, v[9:12] offset:4240
.LBB0_11:
	s_or_b32 exec_lo, exec_lo, s4
	v_mov_b32_e32 v4, v8
	v_mov_b32_e32 v9, v1
	;; [unrolled: 1-line block ×3, first 2 shown]
.LBB0_12:
	s_or_b32 exec_lo, exec_lo, s1
	v_lshl_add_u32 v14, v2, 4, 0
	v_lshlrev_b32_e32 v17, 4, v4
	s_waitcnt lgkmcnt(0)
	s_barrier
	buffer_gl0_inv
	v_lshlrev_b64 v[8:9], 4, v[8:9]
	v_add_nc_u32_e32 v15, v14, v17
	v_sub_nc_u32_e32 v18, v14, v17
	s_add_u32 s1, s8, 0x11a0
	s_addc_u32 s4, s9, 0
	ds_read_b64 v[10:11], v15
	ds_read_b64 v[12:13], v18 offset:4608
	s_mov_b32 s5, exec_lo
	s_waitcnt lgkmcnt(0)
	v_add_f64 v[0:1], v[10:11], v[12:13]
	v_add_f64 v[2:3], v[10:11], -v[12:13]
	v_cmpx_ne_u32_e32 0, v4
	s_xor_b32 s5, exec_lo, s5
	s_cbranch_execz .LBB0_14
; %bb.13:
	v_add_co_u32 v0, s0, s1, v8
	v_add_co_ci_u32_e64 v1, s0, s4, v9, s0
	v_add_f64 v[23:24], v[10:11], v[12:13]
	v_add_f64 v[25:26], v[10:11], -v[12:13]
	global_load_dwordx4 v[19:22], v[0:1], off
	ds_read_b64 v[0:1], v18 offset:4616
	ds_read_b64 v[2:3], v15 offset:8
	s_waitcnt lgkmcnt(0)
	v_add_f64 v[10:11], v[0:1], v[2:3]
	v_add_f64 v[0:1], v[2:3], -v[0:1]
	s_waitcnt vmcnt(0)
	v_fma_f64 v[2:3], v[25:26], v[21:22], v[23:24]
	v_fma_f64 v[12:13], -v[25:26], v[21:22], v[23:24]
	v_fma_f64 v[23:24], v[10:11], v[21:22], -v[0:1]
	v_fma_f64 v[21:22], v[10:11], v[21:22], v[0:1]
	v_fma_f64 v[0:1], -v[10:11], v[19:20], v[2:3]
	v_fma_f64 v[10:11], v[10:11], v[19:20], v[12:13]
	v_fma_f64 v[12:13], v[25:26], v[19:20], v[23:24]
	;; [unrolled: 1-line block ×3, first 2 shown]
	ds_write_b128 v18, v[10:13] offset:4608
.LBB0_14:
	s_andn2_saveexec_b32 s0, s5
	s_cbranch_execz .LBB0_16
; %bb.15:
	ds_read_b128 v[10:13], v14 offset:2304
	s_waitcnt lgkmcnt(0)
	v_add_f64 v[10:11], v[10:11], v[10:11]
	v_mul_f64 v[12:13], v[12:13], -2.0
	ds_write_b128 v14, v[10:13] offset:2304
.LBB0_16:
	s_or_b32 exec_lo, exec_lo, s0
	v_mov_b32_e32 v5, 0
	s_mov_b32 s5, 0xbfebb67a
	v_mov_b32_e32 v99, 5
	v_lshlrev_b64 v[10:11], 4, v[4:5]
	v_add_co_u32 v12, s0, s1, v10
	v_add_co_ci_u32_e64 v13, s0, s4, v11, s0
	s_mov_b32 s0, 0xe8584caa
	s_mov_b32 s1, 0x3febb67a
	;; [unrolled: 1-line block ×3, first 2 shown]
	s_clause 0x2
	global_load_dwordx4 v[19:22], v[12:13], off offset:384
	global_load_dwordx4 v[23:26], v[12:13], off offset:768
	;; [unrolled: 1-line block ×3, first 2 shown]
	ds_write_b128 v15, v[0:3]
	ds_read_b128 v[0:3], v15 offset:384
	ds_read_b128 v[31:34], v18 offset:4224
	global_load_dwordx4 v[35:38], v[12:13], off offset:1536
	s_waitcnt lgkmcnt(0)
	v_add_f64 v[39:40], v[0:1], v[31:32]
	v_add_f64 v[41:42], v[33:34], v[2:3]
	v_add_f64 v[43:44], v[0:1], -v[31:32]
	v_add_f64 v[0:1], v[2:3], -v[33:34]
	s_waitcnt vmcnt(3)
	v_fma_f64 v[2:3], v[43:44], v[21:22], v[39:40]
	v_fma_f64 v[31:32], v[41:42], v[21:22], v[0:1]
	v_fma_f64 v[33:34], -v[43:44], v[21:22], v[39:40]
	v_fma_f64 v[21:22], v[41:42], v[21:22], -v[0:1]
	v_fma_f64 v[0:1], -v[41:42], v[19:20], v[2:3]
	v_fma_f64 v[2:3], v[43:44], v[19:20], v[31:32]
	v_fma_f64 v[31:32], v[41:42], v[19:20], v[33:34]
	;; [unrolled: 1-line block ×3, first 2 shown]
	ds_write_b128 v15, v[0:3] offset:384
	ds_write_b128 v18, v[31:34] offset:4224
	ds_read_b128 v[0:3], v15 offset:768
	ds_read_b128 v[19:22], v18 offset:3840
	global_load_dwordx4 v[31:34], v[12:13], off offset:1920
	s_waitcnt lgkmcnt(0)
	v_add_f64 v[12:13], v[0:1], v[19:20]
	v_add_f64 v[39:40], v[21:22], v[2:3]
	v_add_f64 v[41:42], v[0:1], -v[19:20]
	v_add_f64 v[0:1], v[2:3], -v[21:22]
	s_waitcnt vmcnt(3)
	v_fma_f64 v[2:3], v[41:42], v[25:26], v[12:13]
	v_fma_f64 v[19:20], v[39:40], v[25:26], v[0:1]
	v_fma_f64 v[12:13], -v[41:42], v[25:26], v[12:13]
	v_fma_f64 v[21:22], v[39:40], v[25:26], -v[0:1]
	v_fma_f64 v[0:1], -v[39:40], v[23:24], v[2:3]
	v_fma_f64 v[2:3], v[41:42], v[23:24], v[19:20]
	v_fma_f64 v[19:20], v[39:40], v[23:24], v[12:13]
	v_fma_f64 v[21:22], v[41:42], v[23:24], v[21:22]
	ds_write_b128 v15, v[0:3] offset:768
	ds_write_b128 v18, v[19:22] offset:3840
	ds_read_b128 v[0:3], v15 offset:1152
	ds_read_b128 v[19:22], v18 offset:3456
	s_waitcnt lgkmcnt(0)
	v_add_f64 v[12:13], v[0:1], v[19:20]
	v_add_f64 v[23:24], v[21:22], v[2:3]
	v_add_f64 v[25:26], v[0:1], -v[19:20]
	v_add_f64 v[0:1], v[2:3], -v[21:22]
	s_waitcnt vmcnt(2)
	v_fma_f64 v[2:3], v[25:26], v[29:30], v[12:13]
	v_fma_f64 v[19:20], v[23:24], v[29:30], v[0:1]
	v_fma_f64 v[12:13], -v[25:26], v[29:30], v[12:13]
	v_fma_f64 v[21:22], v[23:24], v[29:30], -v[0:1]
	v_fma_f64 v[0:1], -v[23:24], v[27:28], v[2:3]
	v_fma_f64 v[2:3], v[25:26], v[27:28], v[19:20]
	v_fma_f64 v[19:20], v[23:24], v[27:28], v[12:13]
	v_fma_f64 v[21:22], v[25:26], v[27:28], v[21:22]
	ds_write_b128 v15, v[0:3] offset:1152
	ds_write_b128 v18, v[19:22] offset:3456
	ds_read_b128 v[0:3], v15 offset:1536
	ds_read_b128 v[19:22], v18 offset:3072
	;; [unrolled: 18-line block ×3, first 2 shown]
	s_waitcnt lgkmcnt(0)
	v_add_f64 v[12:13], v[0:1], v[19:20]
	v_add_f64 v[23:24], v[21:22], v[2:3]
	v_add_f64 v[0:1], v[0:1], -v[19:20]
	v_add_f64 v[2:3], v[2:3], -v[21:22]
	s_waitcnt vmcnt(0)
	v_fma_f64 v[19:20], v[0:1], v[33:34], v[12:13]
	v_fma_f64 v[21:22], v[23:24], v[33:34], v[2:3]
	v_fma_f64 v[12:13], -v[0:1], v[33:34], v[12:13]
	v_fma_f64 v[2:3], v[23:24], v[33:34], -v[2:3]
	v_fma_f64 v[19:20], -v[23:24], v[31:32], v[19:20]
	v_fma_f64 v[21:22], v[0:1], v[31:32], v[21:22]
	v_fma_f64 v[23:24], v[23:24], v[31:32], v[12:13]
	;; [unrolled: 1-line block ×3, first 2 shown]
	v_add3_u32 v0, 0, v17, v16
	v_and_b32_e32 v3, 0xff, v4
	ds_write_b128 v15, v[19:22] offset:1920
	ds_write_b128 v18, v[23:26] offset:2688
	s_waitcnt lgkmcnt(0)
	s_barrier
	buffer_gl0_inv
	s_barrier
	buffer_gl0_inv
	ds_read_b128 v[17:20], v0 offset:3840
	ds_read_b128 v[21:24], v0 offset:2304
	;; [unrolled: 1-line block ×5, first 2 shown]
	ds_read_b128 v[37:40], v15
	ds_read_b128 v[41:44], v0 offset:768
	ds_read_b128 v[45:48], v0 offset:1152
	;; [unrolled: 1-line block ×5, first 2 shown]
	s_waitcnt lgkmcnt(9)
	v_add_f64 v[1:2], v[23:24], v[19:20]
	v_add_f64 v[12:13], v[21:22], v[17:18]
	s_waitcnt lgkmcnt(7)
	v_add_f64 v[61:62], v[25:26], v[29:30]
	v_add_f64 v[63:64], v[27:28], v[31:32]
	;; [unrolled: 3-line block ×4, first 2 shown]
	v_add_f64 v[73:74], v[23:24], -v[19:20]
	v_add_f64 v[75:76], v[21:22], -v[17:18]
	ds_read_b128 v[21:24], v0 offset:3456
	s_waitcnt lgkmcnt(2)
	v_add_f64 v[77:78], v[49:50], v[53:54]
	s_waitcnt lgkmcnt(0)
	s_barrier
	buffer_gl0_inv
	v_fma_f64 v[1:2], v[1:2], -0.5, v[43:44]
	v_fma_f64 v[12:13], v[12:13], -0.5, v[41:42]
	v_add_f64 v[41:42], v[27:28], -v[31:32]
	v_fma_f64 v[43:44], v[61:62], -0.5, v[45:46]
	v_add_f64 v[61:62], v[25:26], -v[29:30]
	v_fma_f64 v[63:64], v[63:64], -0.5, v[47:48]
	v_add_f64 v[25:26], v[45:46], v[25:26]
	v_add_f64 v[27:28], v[47:48], v[27:28]
	;; [unrolled: 1-line block ×3, first 2 shown]
	v_add_f64 v[47:48], v[35:36], -v[59:60]
	v_add_f64 v[35:36], v[35:36], v[59:60]
	v_add_f64 v[33:34], v[33:34], -v[57:58]
	v_add_f64 v[57:58], v[65:66], v[57:58]
	v_add_f64 v[59:60], v[67:68], v[59:60]
	;; [unrolled: 1-line block ×6, first 2 shown]
	v_add_f64 v[53:54], v[53:54], -v[21:22]
	v_fma_f64 v[67:68], v[75:76], s[4:5], v[1:2]
	v_fma_f64 v[18:19], v[73:74], s[0:1], v[12:13]
	;; [unrolled: 1-line block ×4, first 2 shown]
	v_add_f64 v[73:74], v[55:56], v[23:24]
	v_fma_f64 v[81:82], v[41:42], s[0:1], v[43:44]
	v_fma_f64 v[41:42], v[41:42], s[4:5], v[43:44]
	;; [unrolled: 1-line block ×4, first 2 shown]
	v_fma_f64 v[37:38], v[45:46], -0.5, v[37:38]
	v_fma_f64 v[35:36], v[35:36], -0.5, v[39:40]
	v_add_f64 v[45:46], v[55:56], -v[23:24]
	v_add_f64 v[63:64], v[77:78], v[21:22]
	v_add_f64 v[83:84], v[27:28], v[31:32]
	v_mul_lo_u16 v1, 0xab, v3
	v_add_nc_u32_e32 v3, 24, v4
	v_add_f64 v[71:72], v[71:72], v[23:24]
	v_fma_f64 v[49:50], v[79:80], -0.5, v[49:50]
	v_add_f64 v[79:80], v[25:26], v[29:30]
	v_lshrrev_b16 v17, 10, v1
	v_mul_f64 v[39:40], v[67:68], s[0:1]
	v_mul_f64 v[55:56], v[18:19], s[4:5]
	v_mul_f64 v[20:21], v[12:13], -0.5
	v_mul_f64 v[22:23], v[75:76], -0.5
	v_fma_f64 v[51:52], v[73:74], -0.5, v[51:52]
	v_mul_f64 v[77:78], v[81:82], s[4:5]
	v_mul_f64 v[24:25], v[41:42], -0.5
	v_mul_f64 v[73:74], v[43:44], s[0:1]
	v_mul_f64 v[26:27], v[61:62], -0.5
	v_fma_f64 v[85:86], v[47:48], s[0:1], v[37:38]
	v_fma_f64 v[47:48], v[47:48], s[4:5], v[37:38]
	;; [unrolled: 1-line block ×3, first 2 shown]
	v_mul_lo_u16 v1, v17, 6
	v_and_b32_e32 v17, 0xffff, v17
	v_add_f64 v[28:29], v[71:72], v[83:84]
	v_fma_f64 v[89:90], v[45:46], s[0:1], v[49:50]
	v_add_f64 v[30:31], v[63:64], -v[79:80]
	v_sub_nc_u16 v2, v4, v1
	v_fma_f64 v[39:40], v[18:19], 0.5, v[39:40]
	v_fma_f64 v[55:56], v[67:68], 0.5, v[55:56]
	v_fma_f64 v[67:68], v[33:34], s[4:5], v[35:36]
	v_fma_f64 v[75:76], v[75:76], s[0:1], v[20:21]
	;; [unrolled: 1-line block ×4, first 2 shown]
	v_fma_f64 v[77:78], v[43:44], 0.5, v[77:78]
	v_fma_f64 v[73:74], v[81:82], 0.5, v[73:74]
	v_fma_f64 v[81:82], v[45:46], s[4:5], v[49:50]
	v_fma_f64 v[93:94], v[53:54], s[0:1], v[51:52]
	;; [unrolled: 1-line block ×4, first 2 shown]
	v_add_f64 v[18:19], v[57:58], v[65:66]
	v_add_f64 v[20:21], v[59:60], v[69:70]
	v_add_f64 v[22:23], v[57:58], -v[65:66]
	v_add_f64 v[24:25], v[59:60], -v[69:70]
	v_add_f64 v[26:27], v[63:64], v[79:80]
	v_add_f64 v[32:33], v[71:72], -v[83:84]
	v_mul_u32_u24_sdwa v1, v2, v99 dst_sel:DWORD dst_unused:UNUSED_PAD src0_sel:BYTE_0 src1_sel:DWORD
	v_mad_u32_u24 v66, 0x50, v4, v0
	v_add_f64 v[34:35], v[85:86], v[39:40]
	v_add_f64 v[38:39], v[85:86], -v[39:40]
	v_add_f64 v[36:37], v[67:68], v[55:56]
	v_add_f64 v[42:43], v[47:48], v[75:76]
	;; [unrolled: 1-line block ×3, first 2 shown]
	v_add_f64 v[40:41], v[67:68], -v[55:56]
	v_add_f64 v[46:47], v[47:48], -v[75:76]
	;; [unrolled: 1-line block ×3, first 2 shown]
	v_add_f64 v[50:51], v[89:90], v[73:74]
	v_add_f64 v[52:53], v[91:92], v[77:78]
	;; [unrolled: 1-line block ×4, first 2 shown]
	v_add_f64 v[54:55], v[89:90], -v[73:74]
	v_add_f64 v[56:57], v[91:92], -v[77:78]
	;; [unrolled: 1-line block ×4, first 2 shown]
	v_lshlrev_b32_e32 v1, 4, v1
	ds_write_b128 v66, v[18:21]
	ds_write_b128 v66, v[22:25] offset:48
	ds_write_b128 v66, v[26:29] offset:2304
	;; [unrolled: 1-line block ×11, first 2 shown]
	s_waitcnt lgkmcnt(0)
	s_barrier
	buffer_gl0_inv
	s_clause 0x3
	global_load_dwordx4 v[18:21], v1, s[8:9]
	global_load_dwordx4 v[22:25], v1, s[8:9] offset:16
	global_load_dwordx4 v[26:29], v1, s[8:9] offset:32
	;; [unrolled: 1-line block ×3, first 2 shown]
	v_and_b32_e32 v12, 0xff, v3
	global_load_dwordx4 v[34:37], v1, s[8:9] offset:64
	v_mad_u32_u24 v94, 0x240, v17, 0
	v_mov_b32_e32 v92, 4
	v_mul_u32_u24_e32 v93, 3, v4
	v_mul_lo_u16 v12, 0xab, v12
	v_lshlrev_b32_sdwa v2, v92, v2 dst_sel:DWORD dst_unused:UNUSED_PAD src0_sel:DWORD src1_sel:BYTE_0
	v_lshrrev_b16 v13, 10, v12
	v_add3_u32 v2, v94, v2, v16
	v_mul_lo_u16 v1, v13, 6
	v_and_b32_e32 v13, 0xffff, v13
	v_sub_nc_u16 v12, v3, v1
	v_mad_u32_u24 v13, 0x240, v13, 0
	v_mul_u32_u24_sdwa v1, v12, v99 dst_sel:DWORD dst_unused:UNUSED_PAD src0_sel:BYTE_0 src1_sel:DWORD
	v_lshlrev_b32_sdwa v12, v92, v12 dst_sel:DWORD dst_unused:UNUSED_PAD src0_sel:DWORD src1_sel:BYTE_0
	v_lshlrev_b32_e32 v78, 4, v1
	v_mad_i32_i24 v1, 0xffffffb0, v4, v66
	v_add3_u32 v12, v13, v12, v16
	v_mov_b32_e32 v13, v5
	global_load_dwordx4 v[38:41], v78, s[8:9]
	ds_read_b128 v[42:45], v1 offset:768
	ds_read_b128 v[46:49], v0 offset:2304
	;; [unrolled: 1-line block ×5, first 2 shown]
	ds_read_b128 v[62:65], v15
	s_waitcnt vmcnt(5) lgkmcnt(5)
	v_mul_f64 v[66:67], v[44:45], v[20:21]
	v_mul_f64 v[20:21], v[42:43], v[20:21]
	s_waitcnt vmcnt(4) lgkmcnt(2)
	v_mul_f64 v[68:69], v[56:57], v[24:25]
	v_mul_f64 v[24:25], v[54:55], v[24:25]
	s_waitcnt vmcnt(3)
	v_mul_f64 v[70:71], v[48:49], v[28:29]
	v_mul_f64 v[28:29], v[46:47], v[28:29]
	v_fma_f64 v[66:67], v[42:43], v[18:19], -v[66:67]
	v_fma_f64 v[72:73], v[44:45], v[18:19], v[20:21]
	ds_read_b128 v[18:21], v0 offset:3072
	ds_read_b128 v[42:45], v0 offset:2688
	v_fma_f64 v[54:55], v[54:55], v[22:23], -v[68:69]
	v_fma_f64 v[56:57], v[56:57], v[22:23], v[24:25]
	ds_read_b128 v[22:25], v0 offset:3840
	v_fma_f64 v[70:71], v[46:47], v[26:27], -v[70:71]
	v_fma_f64 v[74:75], v[48:49], v[26:27], v[28:29]
	ds_read_b128 v[46:49], v0 offset:3456
	global_load_dwordx4 v[26:29], v78, s[8:9] offset:16
	s_waitcnt vmcnt(3) lgkmcnt(3)
	v_mul_f64 v[68:69], v[20:21], v[32:33]
	v_mul_f64 v[32:33], v[18:19], v[32:33]
	v_fma_f64 v[68:69], v[18:19], v[30:31], -v[68:69]
	v_fma_f64 v[76:77], v[20:21], v[30:31], v[32:33]
	global_load_dwordx4 v[18:21], v78, s[8:9] offset:32
	s_waitcnt vmcnt(3) lgkmcnt(1)
	v_mul_f64 v[30:31], v[24:25], v[36:37]
	v_mul_f64 v[32:33], v[22:23], v[36:37]
	v_fma_f64 v[36:37], v[22:23], v[34:35], -v[30:31]
	v_fma_f64 v[34:35], v[24:25], v[34:35], v[32:33]
	s_waitcnt vmcnt(2)
	v_mul_f64 v[30:31], v[52:53], v[40:41]
	global_load_dwordx4 v[22:25], v78, s[8:9] offset:48
	v_mul_f64 v[32:33], v[50:51], v[40:41]
	v_fma_f64 v[40:41], v[50:51], v[38:39], -v[30:31]
	v_fma_f64 v[38:39], v[52:53], v[38:39], v[32:33]
	global_load_dwordx4 v[30:33], v78, s[8:9] offset:64
	s_waitcnt vmcnt(3)
	v_mul_f64 v[50:51], v[60:61], v[28:29]
	v_mul_f64 v[28:29], v[58:59], v[28:29]
	v_fma_f64 v[50:51], v[58:59], v[26:27], -v[50:51]
	v_fma_f64 v[28:29], v[60:61], v[26:27], v[28:29]
	v_add_f64 v[60:61], v[64:65], v[56:57]
	s_waitcnt vmcnt(2)
	v_mul_f64 v[26:27], v[44:45], v[20:21]
	v_mul_f64 v[20:21], v[42:43], v[20:21]
	v_add_f64 v[60:61], v[60:61], v[76:77]
	v_fma_f64 v[42:43], v[42:43], v[18:19], -v[26:27]
	v_fma_f64 v[44:45], v[44:45], v[18:19], v[20:21]
	s_waitcnt vmcnt(1) lgkmcnt(0)
	v_mul_f64 v[52:53], v[48:49], v[24:25]
	v_mul_f64 v[58:59], v[46:47], v[24:25]
	ds_read_b128 v[18:21], v0 offset:4224
	ds_read_b128 v[24:27], v1 offset:384
	s_waitcnt vmcnt(0) lgkmcnt(0)
	s_barrier
	buffer_gl0_inv
	v_fma_f64 v[46:47], v[46:47], v[22:23], -v[52:53]
	v_fma_f64 v[22:23], v[48:49], v[22:23], v[58:59]
	v_mul_f64 v[48:49], v[20:21], v[32:33]
	v_mul_f64 v[32:33], v[18:19], v[32:33]
	v_add_f64 v[52:53], v[54:55], v[68:69]
	v_add_f64 v[58:59], v[56:57], v[76:77]
	v_add_f64 v[56:57], v[56:57], -v[76:77]
	v_fma_f64 v[18:19], v[18:19], v[30:31], -v[48:49]
	v_fma_f64 v[20:21], v[20:21], v[30:31], v[32:33]
	v_add_f64 v[30:31], v[50:51], v[46:47]
	v_add_f64 v[32:33], v[28:29], v[22:23]
	;; [unrolled: 1-line block ×3, first 2 shown]
	v_fma_f64 v[52:53], v[52:53], -0.5, v[62:63]
	v_add_f64 v[62:63], v[24:25], v[50:51]
	v_fma_f64 v[58:59], v[58:59], -0.5, v[64:65]
	v_add_f64 v[64:65], v[74:75], v[34:35]
	v_add_f64 v[54:55], v[54:55], -v[68:69]
	v_add_f64 v[50:51], v[50:51], -v[46:47]
	v_add_f64 v[76:77], v[42:43], v[18:19]
	v_fma_f64 v[24:25], v[30:31], -0.5, v[24:25]
	v_fma_f64 v[30:31], v[32:33], -0.5, v[26:27]
	v_add_f64 v[32:33], v[70:71], v[36:37]
	v_add_f64 v[48:49], v[48:49], v[68:69]
	;; [unrolled: 1-line block ×3, first 2 shown]
	v_add_f64 v[70:71], v[70:71], -v[36:37]
	v_fma_f64 v[64:65], v[64:65], -0.5, v[72:73]
	v_add_f64 v[72:73], v[72:73], v[74:75]
	v_add_f64 v[74:75], v[74:75], -v[34:35]
	v_add_f64 v[26:27], v[26:27], v[28:29]
	v_add_f64 v[28:29], v[28:29], -v[22:23]
	v_add_f64 v[46:47], v[62:63], v[46:47]
	v_fma_f64 v[78:79], v[56:57], s[0:1], v[52:53]
	v_fma_f64 v[80:81], v[54:55], s[4:5], v[58:59]
	;; [unrolled: 1-line block ×5, first 2 shown]
	v_fma_f64 v[32:33], v[32:33], -0.5, v[66:67]
	v_add_f64 v[66:67], v[44:45], v[20:21]
	v_add_f64 v[36:37], v[68:69], v[36:37]
	;; [unrolled: 1-line block ×3, first 2 shown]
	v_fma_f64 v[40:41], v[76:77], -0.5, v[40:41]
	v_add_f64 v[76:77], v[38:39], v[44:45]
	v_add_f64 v[44:45], v[44:45], -v[20:21]
	v_add_f64 v[42:43], v[42:43], -v[18:19]
	v_add_f64 v[34:35], v[72:73], v[34:35]
	v_add_f64 v[62:63], v[26:27], v[22:23]
	v_fma_f64 v[82:83], v[28:29], s[4:5], v[24:25]
	v_fma_f64 v[86:87], v[50:51], s[0:1], v[30:31]
	v_fma_f64 v[38:39], v[66:67], -0.5, v[38:39]
	v_fma_f64 v[66:67], v[74:75], s[0:1], v[32:33]
	v_fma_f64 v[32:33], v[74:75], s[4:5], v[32:33]
	;; [unrolled: 1-line block ×6, first 2 shown]
	v_add_f64 v[68:69], v[68:69], v[18:19]
	v_add_f64 v[76:77], v[76:77], v[20:21]
	v_fma_f64 v[72:73], v[42:43], s[4:5], v[38:39]
	v_fma_f64 v[38:39], v[42:43], s[0:1], v[38:39]
	v_mul_f64 v[42:43], v[66:67], s[4:5]
	v_mul_f64 v[44:45], v[74:75], s[0:1]
	v_mul_f64 v[18:19], v[32:33], -0.5
	v_mul_f64 v[20:21], v[64:65], -0.5
	v_mul_f64 v[26:27], v[70:71], s[4:5]
	v_mul_f64 v[56:57], v[40:41], -0.5
	v_mul_f64 v[22:23], v[72:73], s[0:1]
	v_mul_f64 v[58:59], v[38:39], -0.5
	v_fma_f64 v[42:43], v[74:75], 0.5, v[42:43]
	v_fma_f64 v[44:45], v[66:67], 0.5, v[44:45]
	v_fma_f64 v[64:65], v[64:65], s[0:1], v[18:19]
	v_fma_f64 v[66:67], v[32:33], s[4:5], v[20:21]
	;; [unrolled: 1-line block ×3, first 2 shown]
	v_fma_f64 v[72:73], v[72:73], 0.5, v[26:27]
	v_fma_f64 v[88:89], v[38:39], s[0:1], v[56:57]
	v_add_f64 v[17:18], v[48:49], v[36:37]
	v_add_f64 v[19:20], v[60:61], v[34:35]
	;; [unrolled: 1-line block ×3, first 2 shown]
	v_add_f64 v[29:30], v[46:47], -v[68:69]
	v_add_f64 v[27:28], v[62:63], v[76:77]
	v_add_f64 v[31:32], v[62:63], -v[76:77]
	v_cmp_gt_u32_e64 s0, 12, v4
	v_fma_f64 v[70:71], v[70:71], 0.5, v[22:23]
	v_fma_f64 v[90:91], v[40:41], s[4:5], v[58:59]
	v_add_f64 v[21:22], v[48:49], -v[36:37]
	v_add_f64 v[23:24], v[60:61], -v[34:35]
	v_add_f64 v[33:34], v[78:79], v[44:45]
	v_add_f64 v[35:36], v[80:81], v[42:43]
	v_add_f64 v[37:38], v[78:79], -v[44:45]
	v_add_f64 v[39:40], v[80:81], -v[42:43]
	v_add_f64 v[41:42], v[52:53], v[64:65]
	v_add_f64 v[43:44], v[54:55], v[66:67]
	;; [unrolled: 4-line block ×3, first 2 shown]
	v_add_f64 v[55:56], v[84:85], -v[72:73]
	v_add_f64 v[61:62], v[82:83], -v[88:89]
	v_lshlrev_b32_e32 v65, 4, v93
	v_add_f64 v[49:50], v[74:75], v[70:71]
	v_add_f64 v[59:60], v[86:87], v[90:91]
	v_add_f64 v[53:54], v[74:75], -v[70:71]
	v_add_f64 v[63:64], v[86:87], -v[90:91]
	ds_write_b128 v2, v[17:20]
	ds_write_b128 v2, v[21:24] offset:288
	ds_write_b128 v2, v[33:36] offset:96
	;; [unrolled: 1-line block ×5, first 2 shown]
	ds_write_b128 v12, v[25:28]
	ds_write_b128 v12, v[49:52] offset:96
	ds_write_b128 v12, v[57:60] offset:192
	;; [unrolled: 1-line block ×5, first 2 shown]
	s_waitcnt lgkmcnt(0)
	s_barrier
	buffer_gl0_inv
	s_clause 0x1
	global_load_dwordx4 v[17:20], v65, s[8:9] offset:480
	global_load_dwordx4 v[21:24], v65, s[8:9] offset:496
	v_add_nc_u32_e32 v2, -12, v4
	global_load_dwordx4 v[25:28], v65, s[8:9] offset:512
	v_cndmask_b32_e64 v2, v2, v3, s0
	v_mul_i32_i24_e32 v12, 3, v2
	v_lshlrev_b64 v[12:13], 4, v[12:13]
	v_add_co_u32 v12, s0, s8, v12
	v_add_co_ci_u32_e64 v13, s0, s9, v13, s0
	s_clause 0x5
	global_load_dwordx4 v[29:32], v[12:13], off offset:480
	global_load_dwordx4 v[33:36], v[12:13], off offset:496
	;; [unrolled: 1-line block ×3, first 2 shown]
	global_load_dwordx4 v[41:44], v65, s[8:9] offset:1056
	global_load_dwordx4 v[45:48], v65, s[8:9] offset:1072
	;; [unrolled: 1-line block ×3, first 2 shown]
	ds_read_b128 v[53:56], v1 offset:1152
	ds_read_b128 v[57:60], v0 offset:2304
	;; [unrolled: 1-line block ×4, first 2 shown]
	ds_read_b128 v[65:68], v15
	v_cmp_lt_u32_e64 s0, 11, v4
	v_cndmask_b32_e64 v3, 0, 0x900, s0
	v_add_co_u32 v8, s0, s8, v8
	v_add_co_ci_u32_e64 v9, s0, s9, v9, s0
	s_waitcnt vmcnt(8) lgkmcnt(4)
	v_mul_f64 v[12:13], v[55:56], v[19:20]
	v_mul_f64 v[19:20], v[53:54], v[19:20]
	s_waitcnt vmcnt(7) lgkmcnt(3)
	v_mul_f64 v[73:74], v[59:60], v[23:24]
	v_mul_f64 v[23:24], v[57:58], v[23:24]
	v_fma_f64 v[12:13], v[53:54], v[17:18], -v[12:13]
	v_fma_f64 v[75:76], v[55:56], v[17:18], v[19:20]
	ds_read_b128 v[17:20], v0 offset:3840
	s_waitcnt vmcnt(6) lgkmcnt(2)
	v_mul_f64 v[77:78], v[71:72], v[27:28]
	v_mul_f64 v[27:28], v[69:70], v[27:28]
	v_fma_f64 v[57:58], v[57:58], v[21:22], -v[73:74]
	v_fma_f64 v[59:60], v[59:60], v[21:22], v[23:24]
	ds_read_b128 v[21:24], v1 offset:1536
	ds_read_b128 v[53:56], v1 offset:1920
	v_fma_f64 v[69:70], v[69:70], v[25:26], -v[77:78]
	s_waitcnt vmcnt(5) lgkmcnt(1)
	v_mul_f64 v[73:74], v[23:24], v[31:32]
	v_mul_f64 v[31:32], v[21:22], v[31:32]
	v_fma_f64 v[71:72], v[71:72], v[25:26], v[27:28]
	ds_read_b128 v[25:28], v0 offset:2688
	v_fma_f64 v[73:74], v[21:22], v[29:30], -v[73:74]
	v_fma_f64 v[29:30], v[23:24], v[29:30], v[31:32]
	ds_read_b128 v[21:24], v0 offset:3072
	s_waitcnt vmcnt(4) lgkmcnt(1)
	v_mul_f64 v[31:32], v[27:28], v[35:36]
	v_mul_f64 v[35:36], v[25:26], v[35:36]
	v_fma_f64 v[31:32], v[25:26], v[33:34], -v[31:32]
	v_fma_f64 v[33:34], v[27:28], v[33:34], v[35:36]
	s_waitcnt vmcnt(3)
	v_mul_f64 v[25:26], v[19:20], v[39:40]
	v_mul_f64 v[27:28], v[17:18], v[39:40]
	s_waitcnt vmcnt(2)
	v_mul_f64 v[35:36], v[55:56], v[43:44]
	v_mul_f64 v[39:40], v[53:54], v[43:44]
	v_fma_f64 v[43:44], v[17:18], v[37:38], -v[25:26]
	v_fma_f64 v[37:38], v[19:20], v[37:38], v[27:28]
	ds_read_b128 v[17:20], v0 offset:4224
	ds_read_b128 v[25:28], v1 offset:384
	v_fma_f64 v[35:36], v[53:54], v[41:42], -v[35:36]
	v_fma_f64 v[39:40], v[55:56], v[41:42], v[39:40]
	s_waitcnt vmcnt(1) lgkmcnt(2)
	v_mul_f64 v[41:42], v[23:24], v[47:48]
	v_mul_f64 v[47:48], v[21:22], v[47:48]
	s_waitcnt vmcnt(0) lgkmcnt(0)
	s_barrier
	buffer_gl0_inv
	v_mul_f64 v[53:54], v[19:20], v[51:52]
	v_mul_f64 v[51:52], v[17:18], v[51:52]
	v_fma_f64 v[21:22], v[21:22], v[45:46], -v[41:42]
	v_fma_f64 v[23:24], v[23:24], v[45:46], v[47:48]
	v_add_f64 v[41:42], v[65:66], -v[57:58]
	v_add_f64 v[45:46], v[67:68], -v[59:60]
	;; [unrolled: 1-line block ×3, first 2 shown]
	v_fma_f64 v[17:18], v[17:18], v[49:50], -v[53:54]
	v_fma_f64 v[19:20], v[19:20], v[49:50], v[51:52]
	v_add_f64 v[49:50], v[75:76], -v[71:72]
	v_add_f64 v[51:52], v[25:26], -v[31:32]
	;; [unrolled: 1-line block ×7, first 2 shown]
	v_fma_f64 v[57:58], v[65:66], 2.0, -v[41:42]
	v_fma_f64 v[59:60], v[67:68], 2.0, -v[45:46]
	;; [unrolled: 1-line block ×3, first 2 shown]
	v_add_f64 v[37:38], v[35:36], -v[17:18]
	v_add_f64 v[43:44], v[39:40], -v[19:20]
	v_fma_f64 v[65:66], v[75:76], 2.0, -v[49:50]
	v_fma_f64 v[67:68], v[25:26], 2.0, -v[51:52]
	;; [unrolled: 1-line block ×7, first 2 shown]
	v_add_f64 v[17:18], v[41:42], -v[49:50]
	v_add_f64 v[19:20], v[45:46], v[47:48]
	v_add_f64 v[23:24], v[53:54], v[31:32]
	v_add_f64 v[29:30], v[57:58], -v[12:13]
	v_add_f64 v[21:22], v[51:52], -v[33:34]
	v_lshlrev_b32_e32 v13, 4, v2
	v_add_co_u32 v2, s0, 0x800, v8
	v_add_nc_u32_e32 v12, 0, v3
	v_add_co_ci_u32_e64 v3, s0, 0, v9, s0
	v_fma_f64 v[75:76], v[35:36], 2.0, -v[37:38]
	v_fma_f64 v[39:40], v[39:40], 2.0, -v[43:44]
	v_add_f64 v[25:26], v[55:56], -v[43:44]
	v_add_f64 v[31:32], v[59:60], -v[65:66]
	v_add3_u32 v8, v12, v13, v16
	v_add_f64 v[33:34], v[67:68], -v[27:28]
	v_add_f64 v[35:36], v[71:72], -v[73:74]
	v_add_f64 v[27:28], v[69:70], v[37:38]
	v_add_co_u32 v12, s0, s8, v10
	v_fma_f64 v[41:42], v[41:42], 2.0, -v[17:18]
	v_fma_f64 v[43:44], v[45:46], 2.0, -v[19:20]
	;; [unrolled: 1-line block ×5, first 2 shown]
	v_add_co_ci_u32_e64 v13, s0, s9, v11, s0
	v_add_f64 v[37:38], v[61:62], -v[75:76]
	v_add_f64 v[39:40], v[63:64], -v[39:40]
	v_fma_f64 v[49:50], v[55:56], 2.0, -v[25:26]
	v_fma_f64 v[55:56], v[59:60], 2.0, -v[31:32]
	;; [unrolled: 1-line block ×7, first 2 shown]
	ds_write_b128 v0, v[17:20] offset:1728
	ds_write_b128 v0, v[41:44] offset:576
	;; [unrolled: 1-line block ×3, first 2 shown]
	ds_write_b128 v0, v[53:56]
	ds_write_b128 v8, v[57:60]
	ds_write_b128 v8, v[45:48] offset:576
	ds_write_b128 v8, v[33:36] offset:1152
	;; [unrolled: 1-line block ×7, first 2 shown]
	s_waitcnt lgkmcnt(0)
	s_barrier
	buffer_gl0_inv
	global_load_dwordx4 v[16:19], v[2:3], off offset:160
	v_add_co_u32 v2, s0, 0x800, v12
	v_add_co_ci_u32_e64 v3, s0, 0, v13, s0
	v_add_co_u32 v12, s0, 0x1000, v12
	s_clause 0x2
	global_load_dwordx4 v[8:11], v[2:3], off offset:544
	global_load_dwordx4 v[20:23], v[2:3], off offset:928
	;; [unrolled: 1-line block ×3, first 2 shown]
	v_add_co_ci_u32_e64 v13, s0, 0, v13, s0
	s_clause 0x1
	global_load_dwordx4 v[28:31], v[2:3], off offset:1696
	global_load_dwordx4 v[32:35], v[12:13], off offset:32
	ds_read_b128 v[36:39], v0 offset:2304
	ds_read_b128 v[40:43], v0 offset:2688
	;; [unrolled: 1-line block ×3, first 2 shown]
	ds_read_b128 v[48:51], v15
	ds_read_b128 v[52:55], v0 offset:3456
	ds_read_b128 v[56:59], v0 offset:3840
	ds_read_b128 v[60:63], v0 offset:4224
	ds_read_b128 v[64:67], v1 offset:384
	s_waitcnt vmcnt(5) lgkmcnt(7)
	v_mul_f64 v[2:3], v[38:39], v[18:19]
	v_mul_f64 v[12:13], v[36:37], v[18:19]
	s_waitcnt vmcnt(4) lgkmcnt(6)
	v_mul_f64 v[18:19], v[42:43], v[10:11]
	v_mul_f64 v[10:11], v[40:41], v[10:11]
	;; [unrolled: 3-line block ×4, first 2 shown]
	v_fma_f64 v[2:3], v[36:37], v[16:17], -v[2:3]
	s_waitcnt vmcnt(1) lgkmcnt(2)
	v_mul_f64 v[36:37], v[58:59], v[30:31]
	v_mul_f64 v[30:31], v[56:57], v[30:31]
	v_fma_f64 v[12:13], v[38:39], v[16:17], v[12:13]
	s_waitcnt vmcnt(0) lgkmcnt(1)
	v_mul_f64 v[38:39], v[62:63], v[34:35]
	v_mul_f64 v[34:35], v[60:61], v[34:35]
	v_fma_f64 v[40:41], v[40:41], v[8:9], -v[18:19]
	v_fma_f64 v[42:43], v[42:43], v[8:9], v[10:11]
	v_fma_f64 v[44:45], v[44:45], v[20:21], -v[68:69]
	v_fma_f64 v[46:47], v[46:47], v[20:21], v[22:23]
	;; [unrolled: 2-line block ×3, first 2 shown]
	ds_read_b128 v[8:11], v1 offset:768
	ds_read_b128 v[15:18], v1 offset:1152
	;; [unrolled: 1-line block ×4, first 2 shown]
	s_waitcnt lgkmcnt(0)
	s_barrier
	buffer_gl0_inv
	v_fma_f64 v[36:37], v[56:57], v[28:29], -v[36:37]
	v_fma_f64 v[56:57], v[58:59], v[28:29], v[30:31]
	v_add_f64 v[27:28], v[48:49], -v[2:3]
	v_fma_f64 v[38:39], v[60:61], v[32:33], -v[38:39]
	v_fma_f64 v[31:32], v[62:63], v[32:33], v[34:35]
	v_add_f64 v[29:30], v[50:51], -v[12:13]
	v_add_f64 v[2:3], v[64:65], -v[40:41]
	v_add_f64 v[12:13], v[66:67], -v[42:43]
	v_add_f64 v[40:41], v[8:9], -v[44:45]
	v_add_f64 v[42:43], v[10:11], -v[46:47]
	v_add_f64 v[44:45], v[15:16], -v[52:53]
	v_add_f64 v[46:47], v[17:18], -v[54:55]
	v_add_f64 v[52:53], v[19:20], -v[36:37]
	v_add_f64 v[54:55], v[21:22], -v[56:57]
	v_add_f64 v[56:57], v[23:24], -v[38:39]
	v_add_f64 v[58:59], v[25:26], -v[31:32]
	v_fma_f64 v[31:32], v[48:49], 2.0, -v[27:28]
	v_fma_f64 v[33:34], v[50:51], 2.0, -v[29:30]
	;; [unrolled: 1-line block ×8, first 2 shown]
	v_add_nc_u32_e32 v39, 0x800, v1
	v_add_nc_u32_e32 v48, 0x1000, v1
	v_fma_f64 v[19:20], v[19:20], 2.0, -v[52:53]
	v_fma_f64 v[21:22], v[21:22], 2.0, -v[54:55]
	;; [unrolled: 1-line block ×4, first 2 shown]
	ds_write_b128 v0, v[27:30] offset:2304
	ds_write_b128 v0, v[31:34]
	ds_write_b128 v1, v[35:38] offset:384
	ds_write2_b64 v39, v[2:3], v[12:13] offset0:80 offset1:81
	ds_write_b128 v1, v[8:11] offset:768
	ds_write2_b64 v39, v[40:41], v[42:43] offset0:128 offset1:129
	;; [unrolled: 2-line block ×5, first 2 shown]
	s_waitcnt lgkmcnt(0)
	s_barrier
	buffer_gl0_inv
	s_and_saveexec_b32 s0, vcc_lo
	s_cbranch_execz .LBB0_18
; %bb.17:
	v_lshl_add_u32 v32, v4, 4, v14
	v_add_nc_u32_e32 v14, 24, v4
	v_mov_b32_e32 v15, v5
	v_lshlrev_b64 v[12:13], 4, v[4:5]
	v_add_co_u32 v33, vcc_lo, s2, v6
	ds_read_b128 v[0:3], v32
	ds_read_b128 v[8:11], v32 offset:384
	v_add_co_ci_u32_e32 v34, vcc_lo, s3, v7, vcc_lo
	v_lshlrev_b64 v[14:15], 4, v[14:15]
	v_add_co_u32 v12, vcc_lo, v33, v12
	v_add_co_ci_u32_e32 v13, vcc_lo, v34, v13, vcc_lo
	v_add_nc_u32_e32 v6, 48, v4
	v_add_co_u32 v14, vcc_lo, v33, v14
	v_mov_b32_e32 v7, v5
	v_add_co_ci_u32_e32 v15, vcc_lo, v34, v15, vcc_lo
	v_add_nc_u32_e32 v16, 0x48, v4
	v_mov_b32_e32 v17, v5
	v_lshlrev_b64 v[18:19], 4, v[6:7]
	v_add_nc_u32_e32 v30, 0x90, v4
	v_mov_b32_e32 v31, v5
	s_waitcnt lgkmcnt(1)
	global_store_dwordx4 v[12:13], v[0:3], off
	s_waitcnt lgkmcnt(0)
	global_store_dwordx4 v[14:15], v[8:11], off
	ds_read_b128 v[0:3], v32 offset:768
	ds_read_b128 v[6:9], v32 offset:1152
	;; [unrolled: 1-line block ×3, first 2 shown]
	v_lshlrev_b64 v[14:15], 4, v[16:17]
	v_add_nc_u32_e32 v16, 0x60, v4
	v_add_co_u32 v22, vcc_lo, v33, v18
	v_add_co_ci_u32_e32 v23, vcc_lo, v34, v19, vcc_lo
	v_lshlrev_b64 v[16:17], 4, v[16:17]
	v_add_nc_u32_e32 v18, 0x78, v4
	v_mov_b32_e32 v19, v5
	v_add_co_u32 v24, vcc_lo, v33, v14
	v_add_co_ci_u32_e32 v25, vcc_lo, v34, v15, vcc_lo
	v_lshlrev_b64 v[28:29], 4, v[18:19]
	ds_read_b128 v[18:21], v32 offset:2304
	v_add_co_u32 v26, vcc_lo, v33, v16
	v_add_co_ci_u32_e32 v27, vcc_lo, v34, v17, vcc_lo
	ds_read_b128 v[14:17], v32 offset:1920
	s_waitcnt lgkmcnt(4)
	global_store_dwordx4 v[22:23], v[0:3], off
	s_waitcnt lgkmcnt(3)
	global_store_dwordx4 v[24:25], v[6:9], off
	;; [unrolled: 2-line block ×3, first 2 shown]
	v_lshlrev_b64 v[0:1], 4, v[30:31]
	v_add_co_u32 v2, vcc_lo, v33, v28
	v_add_co_ci_u32_e32 v3, vcc_lo, v34, v29, vcc_lo
	v_add_nc_u32_e32 v6, 0xa8, v4
	v_mov_b32_e32 v7, v5
	v_add_co_u32 v8, vcc_lo, v33, v0
	v_add_co_ci_u32_e32 v9, vcc_lo, v34, v1, vcc_lo
	v_add_nc_u32_e32 v10, 0xc0, v4
	v_mov_b32_e32 v11, v5
	v_lshlrev_b64 v[6:7], 4, v[6:7]
	s_waitcnt lgkmcnt(1)
	global_store_dwordx4 v[8:9], v[18:21], off
	v_add_nc_u32_e32 v26, 0xf0, v4
	v_mov_b32_e32 v27, v5
	v_lshlrev_b64 v[8:9], 4, v[10:11]
	s_waitcnt lgkmcnt(0)
	global_store_dwordx4 v[2:3], v[14:17], off
	v_add_co_u32 v22, vcc_lo, v33, v6
	v_add_nc_u32_e32 v14, 0xd8, v4
	v_mov_b32_e32 v15, v5
	v_add_co_ci_u32_e32 v23, vcc_lo, v34, v7, vcc_lo
	v_add_co_u32 v24, vcc_lo, v33, v8
	ds_read_b128 v[0:3], v32 offset:2688
	v_add_co_ci_u32_e32 v25, vcc_lo, v34, v9, vcc_lo
	ds_read_b128 v[6:9], v32 offset:3072
	ds_read_b128 v[10:13], v32 offset:3456
	v_lshlrev_b64 v[28:29], 4, v[14:15]
	ds_read_b128 v[14:17], v32 offset:3840
	ds_read_b128 v[18:21], v32 offset:4224
	v_add_nc_u32_e32 v4, 0x108, v4
	v_lshlrev_b64 v[26:27], 4, v[26:27]
	v_add_co_u32 v28, vcc_lo, v33, v28
	v_lshlrev_b64 v[4:5], 4, v[4:5]
	v_add_co_ci_u32_e32 v29, vcc_lo, v34, v29, vcc_lo
	v_add_co_u32 v26, vcc_lo, v33, v26
	v_add_co_ci_u32_e32 v27, vcc_lo, v34, v27, vcc_lo
	v_add_co_u32 v4, vcc_lo, v33, v4
	v_add_co_ci_u32_e32 v5, vcc_lo, v34, v5, vcc_lo
	s_waitcnt lgkmcnt(4)
	global_store_dwordx4 v[22:23], v[0:3], off
	s_waitcnt lgkmcnt(3)
	global_store_dwordx4 v[24:25], v[6:9], off
	;; [unrolled: 2-line block ×5, first 2 shown]
.LBB0_18:
	s_endpgm
	.section	.rodata,"a",@progbits
	.p2align	6, 0x0
	.amdhsa_kernel fft_rtc_fwd_len288_factors_6_6_4_2_wgs_120_tpt_24_halfLds_dp_ip_CI_unitstride_sbrr_C2R_dirReg
		.amdhsa_group_segment_fixed_size 0
		.amdhsa_private_segment_fixed_size 0
		.amdhsa_kernarg_size 88
		.amdhsa_user_sgpr_count 6
		.amdhsa_user_sgpr_private_segment_buffer 1
		.amdhsa_user_sgpr_dispatch_ptr 0
		.amdhsa_user_sgpr_queue_ptr 0
		.amdhsa_user_sgpr_kernarg_segment_ptr 1
		.amdhsa_user_sgpr_dispatch_id 0
		.amdhsa_user_sgpr_flat_scratch_init 0
		.amdhsa_user_sgpr_private_segment_size 0
		.amdhsa_wavefront_size32 1
		.amdhsa_uses_dynamic_stack 0
		.amdhsa_system_sgpr_private_segment_wavefront_offset 0
		.amdhsa_system_sgpr_workgroup_id_x 1
		.amdhsa_system_sgpr_workgroup_id_y 0
		.amdhsa_system_sgpr_workgroup_id_z 0
		.amdhsa_system_sgpr_workgroup_info 0
		.amdhsa_system_vgpr_workitem_id 0
		.amdhsa_next_free_vgpr 100
		.amdhsa_next_free_sgpr 21
		.amdhsa_reserve_vcc 1
		.amdhsa_reserve_flat_scratch 0
		.amdhsa_float_round_mode_32 0
		.amdhsa_float_round_mode_16_64 0
		.amdhsa_float_denorm_mode_32 3
		.amdhsa_float_denorm_mode_16_64 3
		.amdhsa_dx10_clamp 1
		.amdhsa_ieee_mode 1
		.amdhsa_fp16_overflow 0
		.amdhsa_workgroup_processor_mode 1
		.amdhsa_memory_ordered 1
		.amdhsa_forward_progress 0
		.amdhsa_shared_vgpr_count 0
		.amdhsa_exception_fp_ieee_invalid_op 0
		.amdhsa_exception_fp_denorm_src 0
		.amdhsa_exception_fp_ieee_div_zero 0
		.amdhsa_exception_fp_ieee_overflow 0
		.amdhsa_exception_fp_ieee_underflow 0
		.amdhsa_exception_fp_ieee_inexact 0
		.amdhsa_exception_int_div_zero 0
	.end_amdhsa_kernel
	.text
.Lfunc_end0:
	.size	fft_rtc_fwd_len288_factors_6_6_4_2_wgs_120_tpt_24_halfLds_dp_ip_CI_unitstride_sbrr_C2R_dirReg, .Lfunc_end0-fft_rtc_fwd_len288_factors_6_6_4_2_wgs_120_tpt_24_halfLds_dp_ip_CI_unitstride_sbrr_C2R_dirReg
                                        ; -- End function
	.section	.AMDGPU.csdata,"",@progbits
; Kernel info:
; codeLenInByte = 8000
; NumSgprs: 23
; NumVgprs: 100
; ScratchSize: 0
; MemoryBound: 0
; FloatMode: 240
; IeeeMode: 1
; LDSByteSize: 0 bytes/workgroup (compile time only)
; SGPRBlocks: 2
; VGPRBlocks: 12
; NumSGPRsForWavesPerEU: 23
; NumVGPRsForWavesPerEU: 100
; Occupancy: 9
; WaveLimiterHint : 1
; COMPUTE_PGM_RSRC2:SCRATCH_EN: 0
; COMPUTE_PGM_RSRC2:USER_SGPR: 6
; COMPUTE_PGM_RSRC2:TRAP_HANDLER: 0
; COMPUTE_PGM_RSRC2:TGID_X_EN: 1
; COMPUTE_PGM_RSRC2:TGID_Y_EN: 0
; COMPUTE_PGM_RSRC2:TGID_Z_EN: 0
; COMPUTE_PGM_RSRC2:TIDIG_COMP_CNT: 0
	.text
	.p2alignl 6, 3214868480
	.fill 48, 4, 3214868480
	.type	__hip_cuid_c3b15478f29481e3,@object ; @__hip_cuid_c3b15478f29481e3
	.section	.bss,"aw",@nobits
	.globl	__hip_cuid_c3b15478f29481e3
__hip_cuid_c3b15478f29481e3:
	.byte	0                               ; 0x0
	.size	__hip_cuid_c3b15478f29481e3, 1

	.ident	"AMD clang version 19.0.0git (https://github.com/RadeonOpenCompute/llvm-project roc-6.4.0 25133 c7fe45cf4b819c5991fe208aaa96edf142730f1d)"
	.section	".note.GNU-stack","",@progbits
	.addrsig
	.addrsig_sym __hip_cuid_c3b15478f29481e3
	.amdgpu_metadata
---
amdhsa.kernels:
  - .args:
      - .actual_access:  read_only
        .address_space:  global
        .offset:         0
        .size:           8
        .value_kind:     global_buffer
      - .offset:         8
        .size:           8
        .value_kind:     by_value
      - .actual_access:  read_only
        .address_space:  global
        .offset:         16
        .size:           8
        .value_kind:     global_buffer
      - .actual_access:  read_only
        .address_space:  global
        .offset:         24
        .size:           8
        .value_kind:     global_buffer
      - .offset:         32
        .size:           8
        .value_kind:     by_value
      - .actual_access:  read_only
        .address_space:  global
        .offset:         40
        .size:           8
        .value_kind:     global_buffer
      - .actual_access:  read_only
        .address_space:  global
        .offset:         48
        .size:           8
        .value_kind:     global_buffer
      - .offset:         56
        .size:           4
        .value_kind:     by_value
      - .actual_access:  read_only
        .address_space:  global
        .offset:         64
        .size:           8
        .value_kind:     global_buffer
      - .actual_access:  read_only
        .address_space:  global
        .offset:         72
        .size:           8
        .value_kind:     global_buffer
      - .address_space:  global
        .offset:         80
        .size:           8
        .value_kind:     global_buffer
    .group_segment_fixed_size: 0
    .kernarg_segment_align: 8
    .kernarg_segment_size: 88
    .language:       OpenCL C
    .language_version:
      - 2
      - 0
    .max_flat_workgroup_size: 120
    .name:           fft_rtc_fwd_len288_factors_6_6_4_2_wgs_120_tpt_24_halfLds_dp_ip_CI_unitstride_sbrr_C2R_dirReg
    .private_segment_fixed_size: 0
    .sgpr_count:     23
    .sgpr_spill_count: 0
    .symbol:         fft_rtc_fwd_len288_factors_6_6_4_2_wgs_120_tpt_24_halfLds_dp_ip_CI_unitstride_sbrr_C2R_dirReg.kd
    .uniform_work_group_size: 1
    .uses_dynamic_stack: false
    .vgpr_count:     100
    .vgpr_spill_count: 0
    .wavefront_size: 32
    .workgroup_processor_mode: 1
amdhsa.target:   amdgcn-amd-amdhsa--gfx1030
amdhsa.version:
  - 1
  - 2
...

	.end_amdgpu_metadata
